;; amdgpu-corpus repo=ROCm/rocFFT kind=compiled arch=gfx1030 opt=O3
	.text
	.amdgcn_target "amdgcn-amd-amdhsa--gfx1030"
	.amdhsa_code_object_version 6
	.protected	fft_rtc_fwd_len91_factors_7_13_wgs_247_tpt_13_dp_ip_CI_sbrr_dirReg ; -- Begin function fft_rtc_fwd_len91_factors_7_13_wgs_247_tpt_13_dp_ip_CI_sbrr_dirReg
	.globl	fft_rtc_fwd_len91_factors_7_13_wgs_247_tpt_13_dp_ip_CI_sbrr_dirReg
	.p2align	8
	.type	fft_rtc_fwd_len91_factors_7_13_wgs_247_tpt_13_dp_ip_CI_sbrr_dirReg,@function
fft_rtc_fwd_len91_factors_7_13_wgs_247_tpt_13_dp_ip_CI_sbrr_dirReg: ; @fft_rtc_fwd_len91_factors_7_13_wgs_247_tpt_13_dp_ip_CI_sbrr_dirReg
; %bb.0:
	s_clause 0x1
	s_load_dwordx2 s[14:15], s[4:5], 0x18
	s_load_dwordx4 s[8:11], s[4:5], 0x0
	v_mul_u32_u24_e32 v1, 0x13b2, v0
	s_load_dwordx2 s[12:13], s[4:5], 0x50
	s_waitcnt lgkmcnt(0)
	s_load_dwordx2 s[2:3], s[14:15], 0x0
	v_lshrrev_b32_e32 v2, 16, v1
	v_mov_b32_e32 v1, 0
	v_cmp_lt_u64_e64 s0, s[10:11], 2
	v_mad_u64_u32 v[36:37], null, s6, 19, v[2:3]
	v_mov_b32_e32 v37, v1
	v_mov_b32_e32 v3, 0
	;; [unrolled: 1-line block ×3, first 2 shown]
	s_and_b32 vcc_lo, exec_lo, s0
	v_mov_b32_e32 v7, v36
	v_mov_b32_e32 v8, v37
	s_cbranch_vccnz .LBB0_8
; %bb.1:
	s_load_dwordx2 s[0:1], s[4:5], 0x10
	v_mov_b32_e32 v3, 0
	v_mov_b32_e32 v5, v36
	s_add_u32 s6, s14, 8
	v_mov_b32_e32 v4, 0
	v_mov_b32_e32 v6, v37
	s_addc_u32 s7, s15, 0
	s_mov_b64 s[18:19], 1
	s_waitcnt lgkmcnt(0)
	s_add_u32 s16, s0, 8
	s_addc_u32 s17, s1, 0
.LBB0_2:                                ; =>This Inner Loop Header: Depth=1
	s_load_dwordx2 s[20:21], s[16:17], 0x0
                                        ; implicit-def: $vgpr7_vgpr8
	s_mov_b32 s0, exec_lo
	s_waitcnt lgkmcnt(0)
	v_or_b32_e32 v2, s21, v6
	v_cmpx_ne_u64_e32 0, v[1:2]
	s_xor_b32 s1, exec_lo, s0
	s_cbranch_execz .LBB0_4
; %bb.3:                                ;   in Loop: Header=BB0_2 Depth=1
	v_cvt_f32_u32_e32 v2, s20
	v_cvt_f32_u32_e32 v7, s21
	s_sub_u32 s0, 0, s20
	s_subb_u32 s22, 0, s21
	v_fmac_f32_e32 v2, 0x4f800000, v7
	v_rcp_f32_e32 v2, v2
	v_mul_f32_e32 v2, 0x5f7ffffc, v2
	v_mul_f32_e32 v7, 0x2f800000, v2
	v_trunc_f32_e32 v7, v7
	v_fmac_f32_e32 v2, 0xcf800000, v7
	v_cvt_u32_f32_e32 v7, v7
	v_cvt_u32_f32_e32 v2, v2
	v_mul_lo_u32 v8, s0, v7
	v_mul_hi_u32 v9, s0, v2
	v_mul_lo_u32 v10, s22, v2
	v_add_nc_u32_e32 v8, v9, v8
	v_mul_lo_u32 v9, s0, v2
	v_add_nc_u32_e32 v8, v8, v10
	v_mul_hi_u32 v10, v2, v9
	v_mul_lo_u32 v11, v2, v8
	v_mul_hi_u32 v12, v2, v8
	v_mul_hi_u32 v13, v7, v9
	v_mul_lo_u32 v9, v7, v9
	v_mul_hi_u32 v14, v7, v8
	v_mul_lo_u32 v8, v7, v8
	v_add_co_u32 v10, vcc_lo, v10, v11
	v_add_co_ci_u32_e32 v11, vcc_lo, 0, v12, vcc_lo
	v_add_co_u32 v9, vcc_lo, v10, v9
	v_add_co_ci_u32_e32 v9, vcc_lo, v11, v13, vcc_lo
	v_add_co_ci_u32_e32 v10, vcc_lo, 0, v14, vcc_lo
	v_add_co_u32 v8, vcc_lo, v9, v8
	v_add_co_ci_u32_e32 v9, vcc_lo, 0, v10, vcc_lo
	v_add_co_u32 v2, vcc_lo, v2, v8
	v_add_co_ci_u32_e32 v7, vcc_lo, v7, v9, vcc_lo
	v_mul_hi_u32 v8, s0, v2
	v_mul_lo_u32 v10, s22, v2
	v_mul_lo_u32 v9, s0, v7
	v_add_nc_u32_e32 v8, v8, v9
	v_mul_lo_u32 v9, s0, v2
	v_add_nc_u32_e32 v8, v8, v10
	v_mul_hi_u32 v10, v2, v9
	v_mul_lo_u32 v11, v2, v8
	v_mul_hi_u32 v12, v2, v8
	v_mul_hi_u32 v13, v7, v9
	v_mul_lo_u32 v9, v7, v9
	v_mul_hi_u32 v14, v7, v8
	v_mul_lo_u32 v8, v7, v8
	v_add_co_u32 v10, vcc_lo, v10, v11
	v_add_co_ci_u32_e32 v11, vcc_lo, 0, v12, vcc_lo
	v_add_co_u32 v9, vcc_lo, v10, v9
	v_add_co_ci_u32_e32 v9, vcc_lo, v11, v13, vcc_lo
	v_add_co_ci_u32_e32 v10, vcc_lo, 0, v14, vcc_lo
	v_add_co_u32 v8, vcc_lo, v9, v8
	v_add_co_ci_u32_e32 v9, vcc_lo, 0, v10, vcc_lo
	v_add_co_u32 v2, vcc_lo, v2, v8
	v_add_co_ci_u32_e32 v11, vcc_lo, v7, v9, vcc_lo
	v_mul_hi_u32 v13, v5, v2
	v_mad_u64_u32 v[9:10], null, v6, v2, 0
	v_mad_u64_u32 v[7:8], null, v5, v11, 0
	v_mad_u64_u32 v[11:12], null, v6, v11, 0
	v_add_co_u32 v2, vcc_lo, v13, v7
	v_add_co_ci_u32_e32 v7, vcc_lo, 0, v8, vcc_lo
	v_add_co_u32 v2, vcc_lo, v2, v9
	v_add_co_ci_u32_e32 v2, vcc_lo, v7, v10, vcc_lo
	v_add_co_ci_u32_e32 v7, vcc_lo, 0, v12, vcc_lo
	v_add_co_u32 v2, vcc_lo, v2, v11
	v_add_co_ci_u32_e32 v9, vcc_lo, 0, v7, vcc_lo
	v_mul_lo_u32 v10, s21, v2
	v_mad_u64_u32 v[7:8], null, s20, v2, 0
	v_mul_lo_u32 v11, s20, v9
	v_sub_co_u32 v7, vcc_lo, v5, v7
	v_add3_u32 v8, v8, v11, v10
	v_sub_nc_u32_e32 v10, v6, v8
	v_subrev_co_ci_u32_e64 v10, s0, s21, v10, vcc_lo
	v_add_co_u32 v11, s0, v2, 2
	v_add_co_ci_u32_e64 v12, s0, 0, v9, s0
	v_sub_co_u32 v13, s0, v7, s20
	v_sub_co_ci_u32_e32 v8, vcc_lo, v6, v8, vcc_lo
	v_subrev_co_ci_u32_e64 v10, s0, 0, v10, s0
	v_cmp_le_u32_e32 vcc_lo, s20, v13
	v_cmp_eq_u32_e64 s0, s21, v8
	v_cndmask_b32_e64 v13, 0, -1, vcc_lo
	v_cmp_le_u32_e32 vcc_lo, s21, v10
	v_cndmask_b32_e64 v14, 0, -1, vcc_lo
	v_cmp_le_u32_e32 vcc_lo, s20, v7
	;; [unrolled: 2-line block ×3, first 2 shown]
	v_cndmask_b32_e64 v15, 0, -1, vcc_lo
	v_cmp_eq_u32_e32 vcc_lo, s21, v10
	v_cndmask_b32_e64 v7, v15, v7, s0
	v_cndmask_b32_e32 v10, v14, v13, vcc_lo
	v_add_co_u32 v13, vcc_lo, v2, 1
	v_add_co_ci_u32_e32 v14, vcc_lo, 0, v9, vcc_lo
	v_cmp_ne_u32_e32 vcc_lo, 0, v10
	v_cndmask_b32_e32 v8, v14, v12, vcc_lo
	v_cndmask_b32_e32 v10, v13, v11, vcc_lo
	v_cmp_ne_u32_e32 vcc_lo, 0, v7
	v_cndmask_b32_e32 v8, v9, v8, vcc_lo
	v_cndmask_b32_e32 v7, v2, v10, vcc_lo
.LBB0_4:                                ;   in Loop: Header=BB0_2 Depth=1
	s_andn2_saveexec_b32 s0, s1
	s_cbranch_execz .LBB0_6
; %bb.5:                                ;   in Loop: Header=BB0_2 Depth=1
	v_cvt_f32_u32_e32 v2, s20
	s_sub_i32 s1, 0, s20
	v_rcp_iflag_f32_e32 v2, v2
	v_mul_f32_e32 v2, 0x4f7ffffe, v2
	v_cvt_u32_f32_e32 v2, v2
	v_mul_lo_u32 v7, s1, v2
	v_mul_hi_u32 v7, v2, v7
	v_add_nc_u32_e32 v2, v2, v7
	v_mul_hi_u32 v2, v5, v2
	v_mul_lo_u32 v7, v2, s20
	v_add_nc_u32_e32 v8, 1, v2
	v_sub_nc_u32_e32 v7, v5, v7
	v_subrev_nc_u32_e32 v9, s20, v7
	v_cmp_le_u32_e32 vcc_lo, s20, v7
	v_cndmask_b32_e32 v7, v7, v9, vcc_lo
	v_cndmask_b32_e32 v2, v2, v8, vcc_lo
	v_cmp_le_u32_e32 vcc_lo, s20, v7
	v_add_nc_u32_e32 v8, 1, v2
	v_cndmask_b32_e32 v7, v2, v8, vcc_lo
	v_mov_b32_e32 v8, v1
.LBB0_6:                                ;   in Loop: Header=BB0_2 Depth=1
	s_or_b32 exec_lo, exec_lo, s0
	s_load_dwordx2 s[0:1], s[6:7], 0x0
	v_mul_lo_u32 v2, v8, s20
	v_mul_lo_u32 v11, v7, s21
	v_mad_u64_u32 v[9:10], null, v7, s20, 0
	s_add_u32 s18, s18, 1
	s_addc_u32 s19, s19, 0
	s_add_u32 s6, s6, 8
	s_addc_u32 s7, s7, 0
	s_add_u32 s16, s16, 8
	s_addc_u32 s17, s17, 0
	v_add3_u32 v2, v10, v11, v2
	v_sub_co_u32 v5, vcc_lo, v5, v9
	v_sub_co_ci_u32_e32 v2, vcc_lo, v6, v2, vcc_lo
	s_waitcnt lgkmcnt(0)
	v_mul_lo_u32 v6, s1, v5
	v_mul_lo_u32 v2, s0, v2
	v_mad_u64_u32 v[3:4], null, s0, v5, v[3:4]
	v_cmp_ge_u64_e64 s0, s[18:19], s[10:11]
	s_and_b32 vcc_lo, exec_lo, s0
	v_add3_u32 v4, v6, v4, v2
	s_cbranch_vccnz .LBB0_8
; %bb.7:                                ;   in Loop: Header=BB0_2 Depth=1
	v_mov_b32_e32 v5, v7
	v_mov_b32_e32 v6, v8
	s_branch .LBB0_2
.LBB0_8:
	s_lshl_b64 s[0:1], s[10:11], 3
                                        ; implicit-def: $vgpr10_vgpr11
                                        ; implicit-def: $vgpr22_vgpr23
                                        ; implicit-def: $vgpr14_vgpr15
                                        ; implicit-def: $vgpr18_vgpr19
                                        ; implicit-def: $vgpr26_vgpr27
	s_add_u32 s0, s14, s0
	s_addc_u32 s1, s15, s1
	s_load_dwordx2 s[0:1], s[0:1], 0x0
	s_load_dwordx2 s[4:5], s[4:5], 0x20
	s_waitcnt lgkmcnt(0)
	v_mul_lo_u32 v5, s0, v8
	v_mul_lo_u32 v6, s1, v7
	v_mad_u64_u32 v[1:2], null, s0, v7, v[3:4]
	v_mul_hi_u32 v3, 0x13b13b14, v0
	v_cmp_gt_u64_e32 vcc_lo, s[4:5], v[7:8]
	v_add3_u32 v2, v6, v2, v5
                                        ; implicit-def: $vgpr6_vgpr7
	v_mul_u32_u24_e32 v3, 13, v3
	v_lshlrev_b64 v[52:53], 4, v[1:2]
	v_sub_nc_u32_e32 v176, v0, v3
                                        ; implicit-def: $vgpr2_vgpr3
	s_and_saveexec_b32 s1, vcc_lo
	s_cbranch_execz .LBB0_10
; %bb.9:
	v_add_nc_u32_e32 v6, 13, v176
	v_mad_u64_u32 v[0:1], null, s2, v176, 0
	v_add_nc_u32_e32 v7, 26, v176
	v_add_nc_u32_e32 v16, 39, v176
	v_mad_u64_u32 v[2:3], null, s2, v6, 0
	v_add_nc_u32_e32 v18, 52, v176
	v_mad_u64_u32 v[8:9], null, s2, v7, 0
	v_add_co_u32 v22, s0, s12, v52
	v_add_co_ci_u32_e64 v23, s0, s13, v53, s0
	v_mad_u64_u32 v[4:5], null, s3, v176, v[1:2]
	v_mad_u64_u32 v[10:11], null, s2, v16, 0
	;; [unrolled: 1-line block ×3, first 2 shown]
	v_add_nc_u32_e32 v20, 0x41, v176
	v_add_nc_u32_e32 v21, 0x4e, v176
	v_mad_u64_u32 v[5:6], null, s3, v6, v[3:4]
	v_mov_b32_e32 v1, v4
	v_mov_b32_e32 v4, v9
	v_mad_u64_u32 v[14:15], null, s2, v20, 0
	v_lshlrev_b64 v[0:1], 4, v[0:1]
	v_mov_b32_e32 v3, v5
	v_mad_u64_u32 v[4:5], null, s3, v7, v[4:5]
	v_add_co_u32 v0, s0, v22, v0
	v_lshlrev_b64 v[2:3], 4, v[2:3]
	v_add_co_ci_u32_e64 v1, s0, v23, v1, s0
	v_mov_b32_e32 v9, v4
	v_add_co_u32 v5, s0, v22, v2
	v_add_co_ci_u32_e64 v6, s0, v23, v3, s0
	v_mov_b32_e32 v2, v11
	v_mov_b32_e32 v3, v13
	v_lshlrev_b64 v[8:9], 4, v[8:9]
	v_mad_u64_u32 v[16:17], null, s3, v16, v[2:3]
	v_mad_u64_u32 v[17:18], null, s3, v18, v[3:4]
	;; [unrolled: 1-line block ×3, first 2 shown]
	v_add_co_u32 v8, s0, v22, v8
	v_mov_b32_e32 v11, v16
	v_mad_u64_u32 v[15:16], null, s3, v20, v[15:16]
	v_mov_b32_e32 v13, v17
	v_mov_b32_e32 v16, v19
	v_lshlrev_b64 v[10:11], 4, v[10:11]
	v_add_co_ci_u32_e64 v9, s0, v23, v9, s0
	v_lshlrev_b64 v[12:13], 4, v[12:13]
	v_mad_u64_u32 v[16:17], null, s3, v21, v[16:17]
	v_add_co_u32 v10, s0, v22, v10
	v_lshlrev_b64 v[14:15], 4, v[14:15]
	v_add_co_ci_u32_e64 v11, s0, v23, v11, s0
	v_add_co_u32 v12, s0, v22, v12
	v_mov_b32_e32 v19, v16
	v_add_co_ci_u32_e64 v13, s0, v23, v13, s0
	v_add_co_u32 v20, s0, v22, v14
	v_lshlrev_b64 v[16:17], 4, v[18:19]
	v_add_co_ci_u32_e64 v21, s0, v23, v15, s0
	s_clause 0x1
	global_load_dwordx4 v[0:3], v[0:1], off
	global_load_dwordx4 v[4:7], v[5:6], off
	v_add_co_u32 v28, s0, v22, v16
	v_add_co_ci_u32_e64 v29, s0, v23, v17, s0
	s_clause 0x4
	global_load_dwordx4 v[24:27], v[8:9], off
	global_load_dwordx4 v[16:19], v[10:11], off
	;; [unrolled: 1-line block ×5, first 2 shown]
.LBB0_10:
	s_or_b32 exec_lo, exec_lo, s1
	s_waitcnt vmcnt(0)
	v_add_f64 v[28:29], v[8:9], v[4:5]
	v_add_f64 v[30:31], v[10:11], v[6:7]
	;; [unrolled: 1-line block ×6, first 2 shown]
	v_add_f64 v[20:21], v[24:25], -v[20:21]
	v_add_f64 v[22:23], v[26:27], -v[22:23]
	v_add_f64 v[12:13], v[12:13], -v[16:17]
	v_add_f64 v[14:15], v[14:15], -v[18:19]
	v_add_f64 v[4:5], v[4:5], -v[8:9]
	v_add_f64 v[6:7], v[6:7], -v[10:11]
	s_mov_b32 s0, 0x37e14327
	s_mov_b32 s1, 0x3fe948f6
	;; [unrolled: 1-line block ×10, first 2 shown]
                                        ; implicit-def: $vgpr50_vgpr51
	v_add_f64 v[8:9], v[32:33], v[28:29]
	v_add_f64 v[10:11], v[34:35], v[30:31]
	v_add_f64 v[16:17], v[28:29], -v[37:38]
	v_add_f64 v[18:19], v[30:31], -v[39:40]
	;; [unrolled: 1-line block ×10, first 2 shown]
	v_add_f64 v[20:21], v[12:13], v[20:21]
	v_add_f64 v[22:23], v[14:15], v[22:23]
	v_add_f64 v[12:13], v[4:5], -v[12:13]
	v_add_f64 v[14:15], v[6:7], -v[14:15]
	v_add_f64 v[8:9], v[37:38], v[8:9]
	v_add_f64 v[10:11], v[39:40], v[10:11]
	v_mul_f64 v[16:17], v[16:17], s[0:1]
	v_mul_f64 v[18:19], v[18:19], s[0:1]
	s_mov_b32 s0, 0x429ad128
	v_mul_f64 v[32:33], v[24:25], s[4:5]
	v_mul_f64 v[34:35], v[26:27], s[4:5]
	;; [unrolled: 1-line block ×4, first 2 shown]
	s_mov_b32 s1, 0x3febfeb5
	s_mov_b32 s6, 0xaaaaaaaa
	v_mul_f64 v[41:42], v[45:46], s[0:1]
	v_mul_f64 v[43:44], v[47:48], s[0:1]
	s_mov_b32 s7, 0xbff2aaaa
	v_add_f64 v[4:5], v[20:21], v[4:5]
	v_add_f64 v[6:7], v[22:23], v[6:7]
	;; [unrolled: 1-line block ×4, first 2 shown]
	v_fma_f64 v[20:21], v[24:25], s[4:5], v[16:17]
	v_fma_f64 v[22:23], v[26:27], s[4:5], v[18:19]
	v_fma_f64 v[24:25], v[28:29], s[10:11], -v[32:33]
	v_fma_f64 v[26:27], v[30:31], s[10:11], -v[34:35]
	s_mov_b32 s11, 0xbfe77f67
	v_fma_f64 v[32:33], v[12:13], s[14:15], v[37:38]
	v_fma_f64 v[34:35], v[14:15], s[14:15], v[39:40]
	s_mov_b32 s15, 0xbfd5d0dc
	v_fma_f64 v[37:38], v[45:46], s[0:1], -v[37:38]
	v_fma_f64 v[39:40], v[47:48], s[0:1], -v[39:40]
	;; [unrolled: 1-line block ×6, first 2 shown]
	v_mul_hi_u32 v43, 0xaf286bcb, v36
	s_mov_b32 s0, 0x37c3f68c
	s_mov_b32 s1, 0x3fdc38aa
                                        ; implicit-def: $vgpr46_vgpr47
	v_fma_f64 v[8:9], v[8:9], s[6:7], v[0:1]
	v_fma_f64 v[10:11], v[10:11], s[6:7], v[2:3]
	v_sub_nc_u32_e32 v44, v36, v43
	v_fma_f64 v[41:42], v[4:5], s[0:1], v[32:33]
	v_fma_f64 v[32:33], v[6:7], s[0:1], v[34:35]
	;; [unrolled: 1-line block ×6, first 2 shown]
	v_lshrrev_b32_e32 v4, 1, v44
	v_cmp_gt_u32_e64 s0, 7, v176
	v_add_nc_u32_e32 v4, v4, v43
	v_add_f64 v[34:35], v[20:21], v[8:9]
	v_add_f64 v[37:38], v[22:23], v[10:11]
	;; [unrolled: 1-line block ×6, first 2 shown]
	v_lshrrev_b32_e32 v4, 4, v4
	v_mul_lo_u32 v39, v4, 19
	v_add_f64 v[4:5], v[32:33], v[34:35]
	v_add_f64 v[6:7], v[37:38], -v[41:42]
	v_add_f64 v[8:9], v[14:15], v[16:17]
	v_add_f64 v[10:11], v[18:19], -v[12:13]
	v_add_f64 v[20:21], v[24:25], -v[30:31]
	v_add_f64 v[22:23], v[28:29], v[26:27]
	v_add_f64 v[24:25], v[30:31], v[24:25]
	v_add_f64 v[26:27], v[26:27], -v[28:29]
	v_add_f64 v[28:29], v[16:17], -v[14:15]
	v_add_f64 v[30:31], v[12:13], v[18:19]
	v_add_f64 v[32:33], v[34:35], -v[32:33]
	v_add_f64 v[34:35], v[41:42], v[37:38]
	v_sub_nc_u32_e32 v13, v36, v39
	v_mad_u32_u24 v12, 0x70, v176, 0
                                        ; implicit-def: $vgpr18_vgpr19
                                        ; implicit-def: $vgpr42_vgpr43
                                        ; implicit-def: $vgpr38_vgpr39
	v_mul_u32_u24_e32 v13, 0x5b, v13
	v_lshl_add_u32 v14, v13, 4, v12
	ds_write_b128 v14, v[0:3]
	ds_write_b128 v14, v[4:7] offset:16
	ds_write_b128 v14, v[8:11] offset:32
	;; [unrolled: 1-line block ×6, first 2 shown]
	s_waitcnt lgkmcnt(0)
	s_barrier
	buffer_gl0_inv
                                        ; implicit-def: $vgpr14_vgpr15
	s_and_saveexec_b32 s1, s0
	s_cbranch_execnz .LBB0_13
; %bb.11:
	s_or_b32 exec_lo, exec_lo, s1
	s_and_b32 s0, vcc_lo, s0
	s_and_saveexec_b32 s1, s0
	s_cbranch_execnz .LBB0_14
.LBB0_12:
	s_endpgm
.LBB0_13:
	v_lshlrev_b32_e32 v0, 4, v13
	v_lshlrev_b32_e32 v1, 4, v176
	v_mul_i32_i24_e32 v2, 0xffffffa0, v176
	v_add3_u32 v1, 0, v0, v1
	v_add3_u32 v16, v12, v2, v0
	ds_read_b128 v[0:3], v1
	ds_read_b128 v[4:7], v16 offset:112
	ds_read_b128 v[8:11], v16 offset:224
	;; [unrolled: 1-line block ×12, first 2 shown]
	s_or_b32 exec_lo, exec_lo, s1
	s_and_b32 s0, vcc_lo, s0
	s_and_saveexec_b32 s1, s0
	s_cbranch_execz .LBB0_12
.LBB0_14:
	v_mul_u32_u24_e32 v54, 12, v176
	v_add_co_u32 v177, vcc_lo, s12, v52
	v_add_co_ci_u32_e32 v178, vcc_lo, s13, v53, vcc_lo
	v_lshlrev_b32_e32 v68, 4, v54
	s_mov_b32 s0, 0xe00740e9
	s_mov_b32 s1, 0x3fec55a7
	;; [unrolled: 1-line block ×4, first 2 shown]
	s_clause 0x1
	global_load_dwordx4 v[56:59], v68, s[8:9] offset:80
	global_load_dwordx4 v[60:63], v68, s[8:9] offset:64
	s_mov_b32 s5, 0xbfddbe06
	s_mov_b32 s7, 0x3fe22d96
	;; [unrolled: 1-line block ×28, first 2 shown]
	v_add_nc_u32_e32 v106, 14, v176
	v_add_nc_u32_e32 v130, 21, v176
	s_mov_b32 s39, 0x3fea55e2
	s_mov_b32 s38, s14
	v_add_nc_u32_e32 v154, 28, v176
	v_add_nc_u32_e32 v181, 35, v176
	s_waitcnt vmcnt(1) lgkmcnt(6)
	v_mul_f64 v[54:55], v[34:35], v[56:57]
	v_mul_f64 v[34:35], v[34:35], v[58:59]
	v_fma_f64 v[54:55], v[32:33], v[58:59], v[54:55]
	v_fma_f64 v[32:33], v[32:33], v[56:57], -v[34:35]
	s_clause 0x1
	global_load_dwordx4 v[56:59], v68, s[8:9] offset:96
	global_load_dwordx4 v[64:67], v68, s[8:9] offset:112
	s_waitcnt vmcnt(1) lgkmcnt(5)
	v_mul_f64 v[34:35], v[46:47], v[56:57]
	v_mul_f64 v[46:47], v[46:47], v[58:59]
	v_fma_f64 v[34:35], v[44:45], v[58:59], v[34:35]
	v_fma_f64 v[46:47], v[44:45], v[56:57], -v[46:47]
	v_mul_f64 v[44:45], v[30:31], v[60:61]
	v_mul_f64 v[30:31], v[30:31], v[62:63]
	v_add_f64 v[52:53], v[54:55], v[34:35]
	v_fma_f64 v[44:45], v[28:29], v[62:63], v[44:45]
	v_fma_f64 v[30:31], v[28:29], v[60:61], -v[30:31]
	s_clause 0x1
	global_load_dwordx4 v[56:59], v68, s[8:9] offset:48
	global_load_dwordx4 v[60:63], v68, s[8:9] offset:32
	s_waitcnt vmcnt(2) lgkmcnt(4)
	v_mul_f64 v[28:29], v[50:51], v[64:65]
	v_mul_f64 v[50:51], v[50:51], v[66:67]
	;; [unrolled: 1-line block ×3, first 2 shown]
	v_fma_f64 v[28:29], v[48:49], v[66:67], v[28:29]
	v_fma_f64 v[50:51], v[48:49], v[64:65], -v[50:51]
	s_waitcnt vmcnt(1)
	v_mul_f64 v[48:49], v[26:27], v[56:57]
	v_mul_f64 v[26:27], v[26:27], v[58:59]
	v_fma_f64 v[48:49], v[24:25], v[58:59], v[48:49]
	v_fma_f64 v[24:25], v[24:25], v[56:57], -v[26:27]
	s_clause 0x1
	global_load_dwordx4 v[56:59], v68, s[8:9] offset:128
	global_load_dwordx4 v[64:67], v68, s[8:9] offset:144
	s_waitcnt vmcnt(1) lgkmcnt(3)
	v_mul_f64 v[26:27], v[38:39], v[56:57]
	v_mul_f64 v[38:39], v[38:39], v[58:59]
	v_fma_f64 v[26:27], v[36:37], v[58:59], v[26:27]
	v_fma_f64 v[38:39], v[36:37], v[56:57], -v[38:39]
	v_mul_f64 v[36:37], v[22:23], v[60:61]
	v_mul_f64 v[22:23], v[22:23], v[62:63]
	v_fma_f64 v[36:37], v[20:21], v[62:63], v[36:37]
	v_fma_f64 v[20:21], v[20:21], v[60:61], -v[22:23]
	s_waitcnt vmcnt(0) lgkmcnt(2)
	v_mul_f64 v[22:23], v[42:43], v[64:65]
	v_fma_f64 v[56:57], v[40:41], v[66:67], v[22:23]
	v_mul_f64 v[22:23], v[42:43], v[66:67]
	v_add_f64 v[66:67], v[48:49], v[26:27]
	v_add_f64 v[72:73], v[36:37], -v[56:57]
	v_fma_f64 v[40:41], v[40:41], v[64:65], -v[22:23]
	s_clause 0x1
	global_load_dwordx4 v[58:61], v68, s[8:9] offset:16
	global_load_dwordx4 v[62:65], v68, s[8:9]
	s_waitcnt vmcnt(1)
	v_mul_f64 v[22:23], v[10:11], v[58:59]
	v_mul_f64 v[10:11], v[10:11], v[60:61]
	v_fma_f64 v[42:43], v[8:9], v[60:61], v[22:23]
	v_fma_f64 v[58:59], v[8:9], v[58:59], -v[10:11]
	s_clause 0x1
	global_load_dwordx4 v[8:11], v68, s[8:9] offset:160
	global_load_dwordx4 v[76:79], v68, s[8:9] offset:176
	v_add_f64 v[60:61], v[44:45], -v[28:29]
	s_mov_b32 s8, 0xebaa3ed8
	s_mov_b32 s9, 0x3fbedb7d
	s_waitcnt vmcnt(1) lgkmcnt(1)
	v_mul_f64 v[22:23], v[14:15], v[8:9]
	v_fma_f64 v[70:71], v[12:13], v[10:11], v[22:23]
	v_mul_f64 v[10:11], v[14:15], v[10:11]
	v_add_f64 v[22:23], v[20:21], -v[40:41]
	v_add_f64 v[86:87], v[42:43], v[70:71]
	v_fma_f64 v[74:75], v[12:13], v[8:9], -v[10:11]
	v_mul_f64 v[8:9], v[6:7], v[62:63]
	v_mul_f64 v[6:7], v[6:7], v[64:65]
	v_add_f64 v[84:85], v[42:43], -v[70:71]
	v_fma_f64 v[68:69], v[4:5], v[64:65], v[8:9]
	v_fma_f64 v[6:7], v[4:5], v[62:63], -v[6:7]
	s_waitcnt vmcnt(0) lgkmcnt(0)
	v_mul_f64 v[8:9], v[18:19], v[78:79]
	v_mul_f64 v[4:5], v[18:19], v[76:77]
	v_add_f64 v[62:63], v[44:45], v[28:29]
	v_add_f64 v[64:65], v[48:49], -v[26:27]
	v_add_f64 v[18:19], v[24:25], -v[38:39]
	v_mul_f64 v[80:81], v[84:85], s[28:29]
	v_mul_f64 v[156:157], v[84:85], s[34:35]
	v_add_f64 v[10:11], v[0:1], v[6:7]
	v_fma_f64 v[76:77], v[16:17], v[76:77], -v[8:9]
	v_add_f64 v[8:9], v[2:3], v[68:69]
	v_fma_f64 v[4:5], v[16:17], v[78:79], v[4:5]
	v_add_f64 v[78:79], v[36:37], v[56:57]
	v_add_f64 v[16:17], v[24:25], v[38:39]
	;; [unrolled: 1-line block ×5, first 2 shown]
	v_add_f64 v[94:95], v[68:69], -v[4:5]
	v_add_f64 v[42:43], v[6:7], v[76:77]
	v_mul_f64 v[82:83], v[78:79], s[22:23]
	v_add_f64 v[10:11], v[20:21], v[10:11]
	v_add_f64 v[20:21], v[20:21], v[40:41]
	;; [unrolled: 1-line block ×3, first 2 shown]
	v_mul_f64 v[100:101], v[88:89], s[6:7]
	v_mul_f64 v[102:103], v[94:95], s[14:15]
	;; [unrolled: 1-line block ×7, first 2 shown]
	v_add_f64 v[10:11], v[24:25], v[10:11]
	v_add_f64 v[24:25], v[58:59], v[74:75]
	;; [unrolled: 1-line block ×4, first 2 shown]
	v_fma_f64 v[158:159], v[24:25], s[8:9], -v[156:157]
	v_add_f64 v[8:9], v[44:45], v[8:9]
	v_add_f64 v[10:11], v[32:33], v[10:11]
	;; [unrolled: 1-line block ×3, first 2 shown]
	v_add_f64 v[54:55], v[54:55], -v[34:35]
	v_add_f64 v[10:11], v[46:47], v[10:11]
	v_add_f64 v[8:9], v[34:35], v[8:9]
	v_mul_f64 v[34:35], v[78:79], s[8:9]
	v_mul_f64 v[122:123], v[54:55], s[24:25]
	;; [unrolled: 1-line block ×4, first 2 shown]
	v_add_f64 v[10:11], v[50:51], v[10:11]
	v_add_f64 v[8:9], v[28:29], v[8:9]
	v_mul_f64 v[28:29], v[86:87], s[6:7]
	v_add_f64 v[10:11], v[38:39], v[10:11]
	v_mul_f64 v[38:39], v[66:67], s[12:13]
	v_add_f64 v[8:9], v[26:27], v[8:9]
	v_add_f64 v[26:27], v[58:59], -v[74:75]
	v_mul_f64 v[58:59], v[94:95], s[4:5]
	v_mul_f64 v[94:95], v[94:95], s[30:31]
	v_add_f64 v[10:11], v[40:41], v[10:11]
	v_add_f64 v[8:9], v[56:57], v[8:9]
	v_mul_f64 v[56:57], v[88:89], s[0:1]
	v_add_f64 v[12:13], v[74:75], v[10:11]
	v_mul_f64 v[74:75], v[66:67], s[18:19]
	v_add_f64 v[8:9], v[70:71], v[8:9]
	v_add_nc_u32_e32 v70, 7, v176
	v_add_f64 v[10:11], v[4:5], v[8:9]
	v_add_f64 v[8:9], v[76:77], v[12:13]
	v_mad_u64_u32 v[12:13], null, s2, v176, 0
	v_mad_u64_u32 v[13:14], null, s3, v176, v[13:14]
	v_add_f64 v[14:15], v[30:31], -v[50:51]
	v_lshlrev_b64 v[12:13], 4, v[12:13]
	v_add_co_u32 v12, vcc_lo, v177, v12
	v_add_co_ci_u32_e32 v13, vcc_lo, v178, v13, vcc_lo
	global_store_dwordx4 v[12:13], v[8:11], off
	v_add_f64 v[10:11], v[32:33], -v[46:47]
	v_add_f64 v[8:9], v[32:33], v[46:47]
	v_add_f64 v[46:47], v[6:7], -v[76:77]
	v_fma_f64 v[6:7], v[26:27], s[14:15], v[28:29]
	v_add_f64 v[12:13], v[30:31], v[50:51]
	v_mul_f64 v[30:31], v[84:85], s[14:15]
	v_mul_f64 v[50:51], v[52:53], s[22:23]
	;; [unrolled: 1-line block ×3, first 2 shown]
	v_fma_f64 v[4:5], v[46:47], s[4:5], v[56:57]
	v_fma_f64 v[32:33], v[24:25], s[6:7], -v[30:31]
	v_add_f64 v[4:5], v[2:3], v[4:5]
	v_add_f64 v[4:5], v[6:7], v[4:5]
	v_fma_f64 v[6:7], v[42:43], s[0:1], -v[58:59]
	v_add_f64 v[6:7], v[0:1], v[6:7]
	v_add_f64 v[6:7], v[32:33], v[6:7]
	v_fma_f64 v[32:33], v[22:23], s[10:11], v[34:35]
	v_add_f64 v[4:5], v[32:33], v[4:5]
	v_mul_f64 v[32:33], v[72:73], s[10:11]
	v_fma_f64 v[36:37], v[20:21], s[8:9], -v[32:33]
	v_add_f64 v[6:7], v[36:37], v[6:7]
	v_fma_f64 v[36:37], v[18:19], s[28:29], v[38:39]
	v_add_f64 v[4:5], v[36:37], v[4:5]
	v_mul_f64 v[36:37], v[64:65], s[28:29]
	v_fma_f64 v[40:41], v[16:17], s[12:13], -v[36:37]
	v_add_f64 v[6:7], v[40:41], v[6:7]
	v_mul_f64 v[40:41], v[62:63], s[18:19]
	v_fma_f64 v[44:45], v[14:15], s[24:25], v[40:41]
	v_add_f64 v[4:5], v[44:45], v[4:5]
	v_mul_f64 v[44:45], v[60:61], s[24:25]
	v_fma_f64 v[48:49], v[12:13], s[18:19], -v[44:45]
	v_add_f64 v[68:69], v[48:49], v[6:7]
	v_fma_f64 v[6:7], v[10:11], s[30:31], v[50:51]
	v_mul_f64 v[48:49], v[54:55], s[30:31]
	v_add_f64 v[6:7], v[6:7], v[4:5]
	v_fma_f64 v[4:5], v[8:9], s[22:23], -v[48:49]
	v_add_f64 v[4:5], v[4:5], v[68:69]
	v_mad_u64_u32 v[68:69], null, s2, v70, 0
	v_mad_u64_u32 v[69:70], null, s3, v70, v[69:70]
	v_fma_f64 v[70:71], v[24:25], s[12:13], -v[80:81]
	v_lshlrev_b64 v[68:69], 4, v[68:69]
	v_add_co_u32 v68, vcc_lo, v177, v68
	v_add_co_ci_u32_e32 v69, vcc_lo, v178, v69, vcc_lo
	global_store_dwordx4 v[68:69], v[4:7], off
	v_fma_f64 v[4:5], v[46:47], s[14:15], v[100:101]
	v_mul_f64 v[68:69], v[86:87], s[12:13]
	v_add_f64 v[4:5], v[2:3], v[4:5]
	v_fma_f64 v[6:7], v[26:27], s[28:29], v[68:69]
	v_add_f64 v[4:5], v[6:7], v[4:5]
	v_fma_f64 v[6:7], v[42:43], s[6:7], -v[102:103]
	v_add_f64 v[6:7], v[0:1], v[6:7]
	v_add_f64 v[6:7], v[70:71], v[6:7]
	v_fma_f64 v[70:71], v[22:23], s[30:31], v[82:83]
	v_add_f64 v[4:5], v[70:71], v[4:5]
	v_fma_f64 v[70:71], v[20:21], s[22:23], -v[76:77]
	v_add_f64 v[6:7], v[70:71], v[6:7]
	v_fma_f64 v[70:71], v[18:19], s[20:21], v[74:75]
	v_add_f64 v[4:5], v[70:71], v[4:5]
	v_mul_f64 v[70:71], v[64:65], s[20:21]
	v_fma_f64 v[90:91], v[16:17], s[18:19], -v[70:71]
	v_add_f64 v[6:7], v[90:91], v[6:7]
	v_mul_f64 v[90:91], v[62:63], s[8:9]
	v_fma_f64 v[92:93], v[14:15], s[34:35], v[90:91]
	v_add_f64 v[4:5], v[92:93], v[4:5]
	v_mul_f64 v[92:93], v[60:61], s[34:35]
	v_fma_f64 v[96:97], v[12:13], s[8:9], -v[92:93]
	v_add_f64 v[104:105], v[96:97], v[6:7]
	v_fma_f64 v[6:7], v[10:11], s[36:37], v[98:99]
	v_mul_f64 v[96:97], v[54:55], s[36:37]
	v_mul_f64 v[54:55], v[54:55], s[34:35]
	v_add_f64 v[6:7], v[6:7], v[4:5]
	v_fma_f64 v[4:5], v[8:9], s[0:1], -v[96:97]
	v_add_f64 v[4:5], v[4:5], v[104:105]
	v_mad_u64_u32 v[104:105], null, s2, v106, 0
	v_mad_u64_u32 v[105:106], null, s3, v106, v[105:106]
	v_mul_f64 v[106:107], v[84:85], s[30:31]
	v_lshlrev_b64 v[104:105], 4, v[104:105]
	v_add_co_u32 v104, vcc_lo, v177, v104
	v_add_co_ci_u32_e32 v105, vcc_lo, v178, v105, vcc_lo
	global_store_dwordx4 v[104:105], v[4:7], off
	v_fma_f64 v[4:5], v[46:47], s[10:11], v[124:125]
	v_mul_f64 v[104:105], v[86:87], s[22:23]
	v_fma_f64 v[108:109], v[24:25], s[22:23], -v[106:107]
	v_add_f64 v[4:5], v[2:3], v[4:5]
	v_fma_f64 v[6:7], v[26:27], s[30:31], v[104:105]
	v_add_f64 v[4:5], v[6:7], v[4:5]
	v_fma_f64 v[6:7], v[42:43], s[8:9], -v[126:127]
	v_add_f64 v[6:7], v[0:1], v[6:7]
	v_add_f64 v[6:7], v[108:109], v[6:7]
	v_mul_f64 v[108:109], v[78:79], s[12:13]
	v_fma_f64 v[110:111], v[22:23], s[16:17], v[108:109]
	v_add_f64 v[4:5], v[110:111], v[4:5]
	v_mul_f64 v[110:111], v[72:73], s[16:17]
	v_fma_f64 v[112:113], v[20:21], s[12:13], -v[110:111]
	v_add_f64 v[6:7], v[112:113], v[6:7]
	v_mul_f64 v[112:113], v[66:67], s[0:1]
	v_fma_f64 v[114:115], v[18:19], s[36:37], v[112:113]
	v_add_f64 v[4:5], v[114:115], v[4:5]
	v_mul_f64 v[114:115], v[64:65], s[36:37]
	v_fma_f64 v[116:117], v[16:17], s[0:1], -v[114:115]
	;; [unrolled: 6-line block ×3, first 2 shown]
	v_add_f64 v[128:129], v[120:121], v[6:7]
	v_mul_f64 v[120:121], v[52:53], s[18:19]
	v_fma_f64 v[6:7], v[10:11], s[24:25], v[120:121]
	v_add_f64 v[6:7], v[6:7], v[4:5]
	v_fma_f64 v[4:5], v[8:9], s[18:19], -v[122:123]
	v_add_f64 v[4:5], v[4:5], v[128:129]
	v_mad_u64_u32 v[128:129], null, s2, v130, 0
	v_mad_u64_u32 v[129:130], null, s3, v130, v[129:130]
	v_mul_f64 v[130:131], v[84:85], s[20:21]
	v_mul_f64 v[84:85], v[84:85], s[36:37]
	v_lshlrev_b64 v[128:129], 4, v[128:129]
	v_add_co_u32 v128, vcc_lo, v177, v128
	v_add_co_ci_u32_e32 v129, vcc_lo, v178, v129, vcc_lo
	global_store_dwordx4 v[128:129], v[4:7], off
	v_fma_f64 v[4:5], v[46:47], s[28:29], v[144:145]
	v_mul_f64 v[128:129], v[86:87], s[18:19]
	v_fma_f64 v[132:133], v[24:25], s[18:19], -v[130:131]
	v_add_f64 v[4:5], v[2:3], v[4:5]
	v_fma_f64 v[6:7], v[26:27], s[20:21], v[128:129]
	v_add_f64 v[4:5], v[6:7], v[4:5]
	v_fma_f64 v[6:7], v[42:43], s[12:13], -v[146:147]
	v_add_f64 v[6:7], v[0:1], v[6:7]
	v_add_f64 v[6:7], v[132:133], v[6:7]
	v_mul_f64 v[132:133], v[78:79], s[0:1]
	v_fma_f64 v[134:135], v[22:23], s[36:37], v[132:133]
	v_add_f64 v[4:5], v[134:135], v[4:5]
	v_mul_f64 v[134:135], v[72:73], s[36:37]
	v_fma_f64 v[136:137], v[20:21], s[0:1], -v[134:135]
	v_add_f64 v[6:7], v[136:137], v[6:7]
	v_mul_f64 v[136:137], v[66:67], s[8:9]
	v_fma_f64 v[138:139], v[18:19], s[10:11], v[136:137]
	v_add_f64 v[4:5], v[138:139], v[4:5]
	v_mul_f64 v[138:139], v[64:65], s[10:11]
	v_fma_f64 v[140:141], v[16:17], s[8:9], -v[138:139]
	;; [unrolled: 6-line block ×3, first 2 shown]
	v_add_f64 v[152:153], v[148:149], v[6:7]
	v_mul_f64 v[148:149], v[52:53], s[6:7]
	v_fma_f64 v[6:7], v[10:11], s[38:39], v[148:149]
	v_add_f64 v[6:7], v[6:7], v[4:5]
	v_fma_f64 v[4:5], v[8:9], s[6:7], -v[150:151]
	v_add_f64 v[4:5], v[4:5], v[152:153]
	v_mad_u64_u32 v[152:153], null, s2, v154, 0
	v_mad_u64_u32 v[153:154], null, s3, v154, v[153:154]
	v_mul_f64 v[154:155], v[86:87], s[8:9]
	v_mul_f64 v[86:87], v[86:87], s[0:1]
	v_lshlrev_b64 v[152:153], 4, v[152:153]
	v_add_co_u32 v152, vcc_lo, v177, v152
	v_add_co_ci_u32_e32 v153, vcc_lo, v178, v153, vcc_lo
	global_store_dwordx4 v[152:153], v[4:7], off
	v_mul_f64 v[152:153], v[88:89], s[18:19]
	v_mul_f64 v[88:89], v[88:89], s[22:23]
	v_fma_f64 v[6:7], v[26:27], s[34:35], v[154:155]
	v_fma_f64 v[4:5], v[46:47], s[24:25], v[152:153]
	v_add_f64 v[4:5], v[2:3], v[4:5]
	v_add_f64 v[4:5], v[6:7], v[4:5]
	v_fma_f64 v[6:7], v[42:43], s[18:19], -v[174:175]
	v_add_f64 v[6:7], v[0:1], v[6:7]
	v_add_f64 v[6:7], v[158:159], v[6:7]
	v_mul_f64 v[158:159], v[78:79], s[6:7]
	v_mul_f64 v[78:79], v[78:79], s[18:19]
	v_fma_f64 v[160:161], v[22:23], s[14:15], v[158:159]
	v_add_f64 v[4:5], v[160:161], v[4:5]
	v_mul_f64 v[160:161], v[72:73], s[14:15]
	v_mul_f64 v[72:73], v[72:73], s[24:25]
	v_fma_f64 v[162:163], v[20:21], s[6:7], -v[160:161]
	v_add_f64 v[6:7], v[162:163], v[6:7]
	v_mul_f64 v[162:163], v[66:67], s[22:23]
	v_mul_f64 v[66:67], v[66:67], s[6:7]
	v_fma_f64 v[164:165], v[18:19], s[26:27], v[162:163]
	v_add_f64 v[4:5], v[164:165], v[4:5]
	v_mul_f64 v[164:165], v[64:65], s[26:27]
	v_mul_f64 v[64:65], v[64:65], s[38:39]
	v_fma_f64 v[166:167], v[16:17], s[22:23], -v[164:165]
	;; [unrolled: 8-line block ×3, first 2 shown]
	v_add_f64 v[179:180], v[170:171], v[6:7]
	v_mul_f64 v[170:171], v[52:53], s[12:13]
	v_mul_f64 v[52:53], v[52:53], s[8:9]
	v_fma_f64 v[6:7], v[10:11], s[28:29], v[170:171]
	v_add_f64 v[6:7], v[6:7], v[4:5]
	v_fma_f64 v[4:5], v[8:9], s[12:13], -v[172:173]
	v_add_f64 v[4:5], v[4:5], v[179:180]
	v_mad_u64_u32 v[179:180], null, s2, v181, 0
	v_mad_u64_u32 v[180:181], null, s3, v181, v[180:181]
	v_add_nc_u32_e32 v181, 42, v176
	v_lshlrev_b64 v[179:180], 4, v[179:180]
	v_add_co_u32 v179, vcc_lo, v177, v179
	v_add_co_ci_u32_e32 v180, vcc_lo, v178, v180, vcc_lo
	global_store_dwordx4 v[179:180], v[4:7], off
	v_fma_f64 v[4:5], v[46:47], s[30:31], v[88:89]
	v_fma_f64 v[6:7], v[26:27], s[36:37], v[86:87]
	v_fma_f64 v[179:180], v[24:25], s[0:1], -v[84:85]
	v_fma_f64 v[84:85], v[24:25], s[0:1], v[84:85]
	v_add_f64 v[4:5], v[2:3], v[4:5]
	v_add_f64 v[4:5], v[6:7], v[4:5]
	v_fma_f64 v[6:7], v[42:43], s[22:23], -v[94:95]
	v_add_f64 v[6:7], v[0:1], v[6:7]
	v_add_f64 v[6:7], v[179:180], v[6:7]
	v_fma_f64 v[179:180], v[22:23], s[24:25], v[78:79]
	v_fma_f64 v[78:79], v[22:23], s[20:21], v[78:79]
	v_add_f64 v[4:5], v[179:180], v[4:5]
	v_fma_f64 v[179:180], v[20:21], s[18:19], -v[72:73]
	v_fma_f64 v[72:73], v[20:21], s[18:19], v[72:73]
	v_add_f64 v[6:7], v[179:180], v[6:7]
	v_fma_f64 v[179:180], v[18:19], s[38:39], v[66:67]
	v_fma_f64 v[66:67], v[18:19], s[14:15], v[66:67]
	v_add_f64 v[4:5], v[179:180], v[4:5]
	v_fma_f64 v[179:180], v[16:17], s[6:7], -v[64:65]
	v_fma_f64 v[64:65], v[16:17], s[6:7], v[64:65]
	;; [unrolled: 6-line block ×3, first 2 shown]
	v_add_f64 v[179:180], v[179:180], v[6:7]
	v_fma_f64 v[6:7], v[10:11], s[34:35], v[52:53]
	v_add_f64 v[6:7], v[6:7], v[4:5]
	v_fma_f64 v[4:5], v[8:9], s[8:9], -v[54:55]
	v_add_f64 v[4:5], v[4:5], v[179:180]
	v_mad_u64_u32 v[179:180], null, s2, v181, 0
	v_mad_u64_u32 v[180:181], null, s3, v181, v[180:181]
	v_lshlrev_b64 v[179:180], 4, v[179:180]
	v_add_co_u32 v179, vcc_lo, v177, v179
	v_add_co_ci_u32_e32 v180, vcc_lo, v178, v180, vcc_lo
	global_store_dwordx4 v[179:180], v[4:7], off
	v_fma_f64 v[4:5], v[46:47], s[26:27], v[88:89]
	v_fma_f64 v[6:7], v[26:27], s[4:5], v[86:87]
	v_add_f64 v[4:5], v[2:3], v[4:5]
	v_add_f64 v[4:5], v[6:7], v[4:5]
	v_fma_f64 v[6:7], v[42:43], s[22:23], v[94:95]
	v_add_f64 v[4:5], v[78:79], v[4:5]
	v_add_f64 v[6:7], v[0:1], v[6:7]
	;; [unrolled: 1-line block ×6, first 2 shown]
	v_fma_f64 v[62:63], v[42:43], s[8:9], v[126:127]
	v_add_f64 v[6:7], v[64:65], v[6:7]
	v_fma_f64 v[64:65], v[42:43], s[6:7], v[102:103]
	v_add_f64 v[60:61], v[60:61], v[6:7]
	v_fma_f64 v[6:7], v[10:11], s[10:11], v[52:53]
	v_fma_f64 v[52:53], v[8:9], s[8:9], v[54:55]
	v_add_nc_u32_e32 v54, 49, v176
	v_add_f64 v[64:65], v[0:1], v[64:65]
	v_add_f64 v[6:7], v[6:7], v[4:5]
	;; [unrolled: 1-line block ×3, first 2 shown]
	v_mad_u64_u32 v[52:53], null, s2, v54, 0
	v_fma_f64 v[60:61], v[42:43], s[12:13], v[146:147]
	v_mad_u64_u32 v[53:54], null, s3, v54, v[53:54]
	v_fma_f64 v[54:55], v[46:47], s[38:39], v[100:101]
	v_lshlrev_b64 v[52:53], 4, v[52:53]
	v_add_co_u32 v52, vcc_lo, v177, v52
	v_add_co_ci_u32_e32 v53, vcc_lo, v178, v53, vcc_lo
	global_store_dwordx4 v[52:53], v[4:7], off
	v_fma_f64 v[4:5], v[46:47], s[20:21], v[152:153]
	v_fma_f64 v[6:7], v[46:47], s[16:17], v[144:145]
	;; [unrolled: 1-line block ×6, first 2 shown]
	v_add_f64 v[58:59], v[0:1], v[60:61]
	v_add_f64 v[60:61], v[0:1], v[62:63]
	v_add_f64 v[62:63], v[2:3], v[54:55]
	v_fma_f64 v[54:55], v[8:9], s[12:13], v[172:173]
	v_add_f64 v[4:5], v[2:3], v[4:5]
	v_add_f64 v[6:7], v[2:3], v[6:7]
	;; [unrolled: 1-line block ×6, first 2 shown]
	v_fma_f64 v[0:1], v[26:27], s[10:11], v[154:155]
	v_fma_f64 v[2:3], v[24:25], s[8:9], v[156:157]
	v_add_f64 v[0:1], v[0:1], v[4:5]
	v_fma_f64 v[4:5], v[22:23], s[38:39], v[158:159]
	v_add_f64 v[2:3], v[2:3], v[56:57]
	;; [unrolled: 2-line block ×9, first 2 shown]
	v_add_f64 v[0:1], v[54:55], v[4:5]
	v_fma_f64 v[4:5], v[26:27], s[24:25], v[128:129]
	v_fma_f64 v[54:55], v[22:23], s[4:5], v[132:133]
	v_add_f64 v[4:5], v[4:5], v[6:7]
	v_fma_f64 v[6:7], v[24:25], s[18:19], v[130:131]
	v_add_f64 v[4:5], v[54:55], v[4:5]
	v_add_f64 v[6:7], v[6:7], v[58:59]
	v_fma_f64 v[54:55], v[20:21], s[0:1], v[134:135]
	v_fma_f64 v[58:59], v[8:9], s[18:19], v[122:123]
	v_add_f64 v[6:7], v[54:55], v[6:7]
	v_fma_f64 v[54:55], v[18:19], s[34:35], v[136:137]
	v_add_f64 v[4:5], v[54:55], v[4:5]
	v_fma_f64 v[54:55], v[16:17], s[8:9], v[138:139]
	v_add_f64 v[6:7], v[54:55], v[6:7]
	v_fma_f64 v[54:55], v[14:15], s[30:31], v[140:141]
	v_add_f64 v[4:5], v[54:55], v[4:5]
	v_fma_f64 v[54:55], v[12:13], s[22:23], v[142:143]
	v_add_f64 v[54:55], v[54:55], v[6:7]
	v_fma_f64 v[6:7], v[10:11], s[14:15], v[148:149]
	v_add_f64 v[6:7], v[6:7], v[4:5]
	v_add_f64 v[4:5], v[56:57], v[54:55]
	v_fma_f64 v[54:55], v[26:27], s[26:27], v[104:105]
	v_fma_f64 v[56:57], v[22:23], s[28:29], v[108:109]
	v_add_f64 v[52:53], v[54:55], v[52:53]
	v_fma_f64 v[54:55], v[24:25], s[22:23], v[106:107]
	v_add_f64 v[52:53], v[56:57], v[52:53]
	v_add_f64 v[54:55], v[54:55], v[60:61]
	v_fma_f64 v[56:57], v[20:21], s[12:13], v[110:111]
	v_add_f64 v[54:55], v[56:57], v[54:55]
	v_fma_f64 v[56:57], v[18:19], s[4:5], v[112:113]
	;; [unrolled: 2-line block ×6, first 2 shown]
	v_add_f64 v[54:55], v[54:55], v[52:53]
	v_add_f64 v[52:53], v[58:59], v[56:57]
	v_fma_f64 v[56:57], v[26:27], s[16:17], v[68:69]
	v_fma_f64 v[26:27], v[26:27], s[38:39], v[28:29]
	;; [unrolled: 1-line block ×6, first 2 shown]
	v_add_f64 v[34:35], v[56:57], v[62:63]
	v_add_f64 v[26:27], v[26:27], v[46:47]
	;; [unrolled: 1-line block ×3, first 2 shown]
	v_fma_f64 v[46:47], v[20:21], s[22:23], v[76:77]
	v_fma_f64 v[20:21], v[20:21], s[8:9], v[32:33]
	v_add_f64 v[24:25], v[24:25], v[42:43]
	v_fma_f64 v[32:33], v[18:19], s[24:25], v[74:75]
	v_fma_f64 v[18:19], v[18:19], s[16:17], v[38:39]
	;; [unrolled: 1-line block ×3, first 2 shown]
	v_add_f64 v[30:31], v[30:31], v[34:35]
	v_add_f64 v[22:23], v[22:23], v[26:27]
	v_fma_f64 v[26:27], v[16:17], s[18:19], v[70:71]
	v_add_f64 v[28:29], v[46:47], v[28:29]
	v_fma_f64 v[16:17], v[16:17], s[12:13], v[36:37]
	;; [unrolled: 2-line block ×3, first 2 shown]
	v_fma_f64 v[34:35], v[10:11], s[26:27], v[50:51]
	v_fma_f64 v[10:11], v[14:15], s[10:11], v[90:91]
	;; [unrolled: 1-line block ×6, first 2 shown]
	v_add_f64 v[8:9], v[32:33], v[30:31]
	v_add_f64 v[18:19], v[18:19], v[22:23]
	v_add_nc_u32_e32 v31, 0x54, v176
	v_add_f64 v[26:27], v[26:27], v[28:29]
	v_or_b32_e32 v28, 56, v176
	v_add_f64 v[16:17], v[16:17], v[20:21]
	v_mad_u64_u32 v[22:23], null, s2, v28, 0
	v_mov_b32_e32 v20, v23
	v_mad_u64_u32 v[20:21], null, s3, v28, v[20:21]
	v_add_nc_u32_e32 v21, 63, v176
	v_add_f64 v[8:9], v[10:11], v[8:9]
	v_add_f64 v[14:15], v[14:15], v[18:19]
	v_add_f64 v[26:27], v[36:37], v[26:27]
	v_add_f64 v[12:13], v[12:13], v[16:17]
	v_mad_u64_u32 v[28:29], null, s2, v21, 0
	v_mov_b32_e32 v23, v20
	v_mov_b32_e32 v10, v29
	v_mad_u64_u32 v[29:30], null, s3, v21, v[10:11]
	v_add_nc_u32_e32 v11, 0x46, v176
	v_add_nc_u32_e32 v30, 0x4d, v176
	v_add_f64 v[14:15], v[34:35], v[14:15]
	v_mad_u64_u32 v[18:19], null, s2, v11, 0
	v_mad_u64_u32 v[20:21], null, s2, v30, 0
	v_add_f64 v[12:13], v[40:41], v[12:13]
	v_mov_b32_e32 v10, v19
	v_mad_u64_u32 v[16:17], null, s3, v11, v[10:11]
	v_add_f64 v[10:11], v[24:25], v[8:9]
	v_mad_u64_u32 v[24:25], null, s2, v31, 0
	v_mov_b32_e32 v17, v21
	v_lshlrev_b64 v[21:22], 4, v[22:23]
	v_add_f64 v[8:9], v[38:39], v[26:27]
	v_mov_b32_e32 v19, v16
	v_mad_u64_u32 v[16:17], null, s3, v30, v[17:18]
	v_mov_b32_e32 v17, v25
	v_add_co_u32 v26, vcc_lo, v177, v21
	v_add_co_ci_u32_e32 v27, vcc_lo, v178, v22, vcc_lo
	v_lshlrev_b64 v[22:23], 4, v[28:29]
	v_mad_u64_u32 v[28:29], null, s3, v31, v[17:18]
	v_mov_b32_e32 v21, v16
	v_lshlrev_b64 v[17:18], 4, v[18:19]
	v_add_co_u32 v22, vcc_lo, v177, v22
	v_lshlrev_b64 v[19:20], 4, v[20:21]
	v_mov_b32_e32 v25, v28
	v_add_co_ci_u32_e32 v23, vcc_lo, v178, v23, vcc_lo
	v_add_co_u32 v16, vcc_lo, v177, v17
	v_lshlrev_b64 v[24:25], 4, v[24:25]
	v_add_co_ci_u32_e32 v17, vcc_lo, v178, v18, vcc_lo
	v_add_co_u32 v18, vcc_lo, v177, v19
	v_add_co_ci_u32_e32 v19, vcc_lo, v178, v20, vcc_lo
	v_add_co_u32 v20, vcc_lo, v177, v24
	v_add_co_ci_u32_e32 v21, vcc_lo, v178, v25, vcc_lo
	global_store_dwordx4 v[26:27], v[0:3], off
	global_store_dwordx4 v[22:23], v[4:7], off
	;; [unrolled: 1-line block ×5, first 2 shown]
	s_endpgm
	.section	.rodata,"a",@progbits
	.p2align	6, 0x0
	.amdhsa_kernel fft_rtc_fwd_len91_factors_7_13_wgs_247_tpt_13_dp_ip_CI_sbrr_dirReg
		.amdhsa_group_segment_fixed_size 0
		.amdhsa_private_segment_fixed_size 0
		.amdhsa_kernarg_size 88
		.amdhsa_user_sgpr_count 6
		.amdhsa_user_sgpr_private_segment_buffer 1
		.amdhsa_user_sgpr_dispatch_ptr 0
		.amdhsa_user_sgpr_queue_ptr 0
		.amdhsa_user_sgpr_kernarg_segment_ptr 1
		.amdhsa_user_sgpr_dispatch_id 0
		.amdhsa_user_sgpr_flat_scratch_init 0
		.amdhsa_user_sgpr_private_segment_size 0
		.amdhsa_wavefront_size32 1
		.amdhsa_uses_dynamic_stack 0
		.amdhsa_system_sgpr_private_segment_wavefront_offset 0
		.amdhsa_system_sgpr_workgroup_id_x 1
		.amdhsa_system_sgpr_workgroup_id_y 0
		.amdhsa_system_sgpr_workgroup_id_z 0
		.amdhsa_system_sgpr_workgroup_info 0
		.amdhsa_system_vgpr_workitem_id 0
		.amdhsa_next_free_vgpr 182
		.amdhsa_next_free_sgpr 40
		.amdhsa_reserve_vcc 1
		.amdhsa_reserve_flat_scratch 0
		.amdhsa_float_round_mode_32 0
		.amdhsa_float_round_mode_16_64 0
		.amdhsa_float_denorm_mode_32 3
		.amdhsa_float_denorm_mode_16_64 3
		.amdhsa_dx10_clamp 1
		.amdhsa_ieee_mode 1
		.amdhsa_fp16_overflow 0
		.amdhsa_workgroup_processor_mode 1
		.amdhsa_memory_ordered 1
		.amdhsa_forward_progress 0
		.amdhsa_shared_vgpr_count 0
		.amdhsa_exception_fp_ieee_invalid_op 0
		.amdhsa_exception_fp_denorm_src 0
		.amdhsa_exception_fp_ieee_div_zero 0
		.amdhsa_exception_fp_ieee_overflow 0
		.amdhsa_exception_fp_ieee_underflow 0
		.amdhsa_exception_fp_ieee_inexact 0
		.amdhsa_exception_int_div_zero 0
	.end_amdhsa_kernel
	.text
.Lfunc_end0:
	.size	fft_rtc_fwd_len91_factors_7_13_wgs_247_tpt_13_dp_ip_CI_sbrr_dirReg, .Lfunc_end0-fft_rtc_fwd_len91_factors_7_13_wgs_247_tpt_13_dp_ip_CI_sbrr_dirReg
                                        ; -- End function
	.section	.AMDGPU.csdata,"",@progbits
; Kernel info:
; codeLenInByte = 7476
; NumSgprs: 42
; NumVgprs: 182
; ScratchSize: 0
; MemoryBound: 1
; FloatMode: 240
; IeeeMode: 1
; LDSByteSize: 0 bytes/workgroup (compile time only)
; SGPRBlocks: 5
; VGPRBlocks: 22
; NumSGPRsForWavesPerEU: 42
; NumVGPRsForWavesPerEU: 182
; Occupancy: 5
; WaveLimiterHint : 1
; COMPUTE_PGM_RSRC2:SCRATCH_EN: 0
; COMPUTE_PGM_RSRC2:USER_SGPR: 6
; COMPUTE_PGM_RSRC2:TRAP_HANDLER: 0
; COMPUTE_PGM_RSRC2:TGID_X_EN: 1
; COMPUTE_PGM_RSRC2:TGID_Y_EN: 0
; COMPUTE_PGM_RSRC2:TGID_Z_EN: 0
; COMPUTE_PGM_RSRC2:TIDIG_COMP_CNT: 0
	.text
	.p2alignl 6, 3214868480
	.fill 48, 4, 3214868480
	.type	__hip_cuid_bb12325e9533ad76,@object ; @__hip_cuid_bb12325e9533ad76
	.section	.bss,"aw",@nobits
	.globl	__hip_cuid_bb12325e9533ad76
__hip_cuid_bb12325e9533ad76:
	.byte	0                               ; 0x0
	.size	__hip_cuid_bb12325e9533ad76, 1

	.ident	"AMD clang version 19.0.0git (https://github.com/RadeonOpenCompute/llvm-project roc-6.4.0 25133 c7fe45cf4b819c5991fe208aaa96edf142730f1d)"
	.section	".note.GNU-stack","",@progbits
	.addrsig
	.addrsig_sym __hip_cuid_bb12325e9533ad76
	.amdgpu_metadata
---
amdhsa.kernels:
  - .args:
      - .actual_access:  read_only
        .address_space:  global
        .offset:         0
        .size:           8
        .value_kind:     global_buffer
      - .offset:         8
        .size:           8
        .value_kind:     by_value
      - .actual_access:  read_only
        .address_space:  global
        .offset:         16
        .size:           8
        .value_kind:     global_buffer
      - .actual_access:  read_only
        .address_space:  global
        .offset:         24
        .size:           8
        .value_kind:     global_buffer
      - .offset:         32
        .size:           8
        .value_kind:     by_value
      - .actual_access:  read_only
        .address_space:  global
        .offset:         40
        .size:           8
        .value_kind:     global_buffer
      - .actual_access:  read_only
        .address_space:  global
        .offset:         48
        .size:           8
        .value_kind:     global_buffer
      - .offset:         56
        .size:           4
        .value_kind:     by_value
      - .actual_access:  read_only
        .address_space:  global
        .offset:         64
        .size:           8
        .value_kind:     global_buffer
      - .actual_access:  read_only
        .address_space:  global
        .offset:         72
        .size:           8
        .value_kind:     global_buffer
      - .address_space:  global
        .offset:         80
        .size:           8
        .value_kind:     global_buffer
    .group_segment_fixed_size: 0
    .kernarg_segment_align: 8
    .kernarg_segment_size: 88
    .language:       OpenCL C
    .language_version:
      - 2
      - 0
    .max_flat_workgroup_size: 247
    .name:           fft_rtc_fwd_len91_factors_7_13_wgs_247_tpt_13_dp_ip_CI_sbrr_dirReg
    .private_segment_fixed_size: 0
    .sgpr_count:     42
    .sgpr_spill_count: 0
    .symbol:         fft_rtc_fwd_len91_factors_7_13_wgs_247_tpt_13_dp_ip_CI_sbrr_dirReg.kd
    .uniform_work_group_size: 1
    .uses_dynamic_stack: false
    .vgpr_count:     182
    .vgpr_spill_count: 0
    .wavefront_size: 32
    .workgroup_processor_mode: 1
amdhsa.target:   amdgcn-amd-amdhsa--gfx1030
amdhsa.version:
  - 1
  - 2
...

	.end_amdgpu_metadata
